;; amdgpu-corpus repo=ROCm/rocm-examples kind=compiled arch=gfx906 opt=O3
	.amdgcn_target "amdgcn-amd-amdhsa--gfx906"
	.amdhsa_code_object_version 6
	.text
	.protected	_Z6conv2dPhS_Pfiiiii    ; -- Begin function _Z6conv2dPhS_Pfiiiii
	.globl	_Z6conv2dPhS_Pfiiiii
	.p2align	8
	.type	_Z6conv2dPhS_Pfiiiii,@function
_Z6conv2dPhS_Pfiiiii:                   ; @_Z6conv2dPhS_Pfiiiii
; %bb.0:
	s_load_dword s0, s[4:5], 0x3c
	s_load_dwordx4 s[8:11], s[4:5], 0x18
	s_waitcnt lgkmcnt(0)
	s_lshr_b32 s1, s0, 16
	s_and_b32 s0, s0, 0xffff
	s_mul_i32 s6, s6, s0
	s_mul_i32 s7, s7, s1
	v_add_u32_e32 v2, s6, v0
	v_add_u32_e32 v3, s7, v1
	v_cmp_gt_i32_e32 vcc, s8, v2
	v_cmp_gt_i32_e64 s[0:1], s9, v3
	s_and_b64 s[0:1], vcc, s[0:1]
	s_cmp_gt_i32 s10, 0
	s_cselect_b64 s[2:3], -1, 0
	s_mov_b32 s7, 0
	s_and_b64 s[0:1], s[0:1], s[2:3]
	s_and_saveexec_b64 s[2:3], s[0:1]
	s_cbranch_execz .LBB0_12
; %bb.1:
	s_load_dword s20, s[4:5], 0x28
	s_mul_i32 s21, s10, s8
	s_mov_b32 s22, 0x437f0000
	s_mov_b32 s23, 0
	s_waitcnt lgkmcnt(0)
	s_cmp_gt_i32 s20, 0
	s_cselect_b64 s[0:1], -1, 0
	s_cmp_gt_i32 s11, 0
	s_cselect_b64 s[2:3], -1, 0
	s_lshr_b32 s12, s11, 31
	s_lshr_b32 s13, s20, 31
	s_add_i32 s12, s11, s12
	s_add_i32 s13, s20, s13
	s_ashr_i32 s14, s12, 1
	s_ashr_i32 s12, s13, 1
	v_subrev_u32_e32 v0, s14, v0
	v_subrev_u32_e32 v1, s12, v3
	v_mad_u64_u32 v[2:3], s[12:13], v3, s8, v[2:3]
	v_add_u32_e32 v0, s6, v0
	v_mad_u64_u32 v[3:4], s[12:13], s8, v1, v[0:1]
	s_load_dwordx4 s[12:15], s[4:5], 0x0
	s_load_dwordx2 s[16:17], s[4:5], 0x10
	v_mul_lo_u32 v2, v2, s10
	v_mul_lo_u32 v3, s10, v3
	v_cndmask_b32_e64 v4, 0, 1, s[0:1]
	v_cmp_ne_u32_e64 s[0:1], 1, v4
	v_cndmask_b32_e64 v4, 0, 1, s[2:3]
	v_cmp_ne_u32_e64 s[2:3], 1, v4
	v_mov_b32_e32 v4, 0
	s_branch .LBB0_4
.LBB0_2:                                ;   in Loop: Header=BB0_4 Depth=1
	v_mul_f32_e32 v5, 0x437f0000, v5
	v_cvt_i32_f32_e32 v5, v5
.LBB0_3:                                ;   in Loop: Header=BB0_4 Depth=1
	v_add_u32_e32 v6, s23, v2
	v_ashrrev_i32_e32 v7, 31, v6
	s_waitcnt lgkmcnt(0)
	v_mov_b32_e32 v8, s15
	v_add_co_u32_e32 v6, vcc, s14, v6
	s_add_i32 s23, s23, 1
	v_addc_co_u32_e32 v7, vcc, v8, v7, vcc
	s_cmp_eq_u32 s23, s10
	v_add_u32_e32 v3, 1, v3
	global_store_byte v[6:7], v5, off
	s_cbranch_scc1 .LBB0_12
.LBB0_4:                                ; =>This Loop Header: Depth=1
                                        ;     Child Loop BB0_7 Depth 2
                                        ;       Child Loop BB0_10 Depth 3
	s_and_b64 vcc, exec, s[0:1]
	v_mov_b32_e32 v5, 0
	s_cbranch_vccnz .LBB0_3
; %bb.5:                                ;   in Loop: Header=BB0_4 Depth=1
	v_mov_b32_e32 v5, 0
	s_mov_b32 s24, 0
	v_mov_b32_e32 v6, v3
	s_mov_b32 s25, 0
	s_branch .LBB0_7
.LBB0_6:                                ;   in Loop: Header=BB0_7 Depth=2
	s_add_i32 s25, s25, 1
	s_add_i32 s24, s24, s11
	s_cmp_eq_u32 s25, s20
	v_add_u32_e32 v6, s21, v6
	s_cbranch_scc1 .LBB0_2
.LBB0_7:                                ;   Parent Loop BB0_4 Depth=1
                                        ; =>  This Loop Header: Depth=2
                                        ;       Child Loop BB0_10 Depth 3
	s_and_b64 vcc, exec, s[2:3]
	s_cbranch_vccnz .LBB0_6
; %bb.8:                                ;   in Loop: Header=BB0_7 Depth=2
	v_add_u32_e32 v7, s25, v1
	v_cmp_lt_i32_e32 vcc, -1, v7
	v_cmp_gt_i32_e64 s[4:5], s9, v7
	s_and_b64 s[18:19], vcc, s[4:5]
	v_mov_b32_e32 v7, v0
	v_mov_b32_e32 v8, v6
	s_mov_b32 s26, s11
	s_mov_b32 s6, s24
	s_branch .LBB0_10
.LBB0_9:                                ;   in Loop: Header=BB0_10 Depth=3
	s_or_b64 exec, exec, s[4:5]
	s_add_i32 s6, s6, 1
	s_add_i32 s26, s26, -1
	v_add_u32_e32 v8, s10, v8
	s_cmp_eq_u32 s26, 0
	v_add_u32_e32 v7, 1, v7
	s_cbranch_scc1 .LBB0_6
.LBB0_10:                               ;   Parent Loop BB0_4 Depth=1
                                        ;     Parent Loop BB0_7 Depth=2
                                        ; =>    This Inner Loop Header: Depth=3
	v_cmp_gt_i32_e64 s[4:5], s8, v7
	v_cmp_lt_i32_e32 vcc, -1, v7
	s_and_b64 s[4:5], s[4:5], s[18:19]
	s_and_b64 s[28:29], vcc, s[4:5]
	s_and_saveexec_b64 s[4:5], s[28:29]
	s_cbranch_execz .LBB0_9
; %bb.11:                               ;   in Loop: Header=BB0_10 Depth=3
	v_ashrrev_i32_e32 v10, 31, v8
	s_waitcnt lgkmcnt(0)
	v_mov_b32_e32 v11, s13
	v_add_co_u32_e32 v9, vcc, s12, v8
	v_addc_co_u32_e32 v10, vcc, v11, v10, vcc
	global_load_ubyte v9, v[9:10], off
	s_lshl_b64 s[28:29], s[6:7], 2
	s_add_u32 s28, s16, s28
	s_addc_u32 s29, s17, s29
	global_load_dword v10, v4, s[28:29]
	s_waitcnt vmcnt(1)
	v_cvt_f32_ubyte0_e32 v9, v9
	v_div_scale_f32 v11, s[28:29], s22, s22, v9
	v_div_scale_f32 v12, vcc, v9, s22, v9
	v_rcp_f32_e32 v13, v11
	v_fma_f32 v14, -v11, v13, 1.0
	v_fmac_f32_e32 v13, v14, v13
	v_mul_f32_e32 v14, v12, v13
	v_fma_f32 v15, -v11, v14, v12
	v_fmac_f32_e32 v14, v15, v13
	v_fma_f32 v11, -v11, v14, v12
	v_div_fmas_f32 v11, v11, v13, v14
	v_div_fixup_f32 v9, v11, s22, v9
	s_waitcnt vmcnt(0)
	v_fmac_f32_e32 v5, v10, v9
	s_branch .LBB0_9
.LBB0_12:
	s_endpgm
	.section	.rodata,"a",@progbits
	.p2align	6, 0x0
	.amdhsa_kernel _Z6conv2dPhS_Pfiiiii
		.amdhsa_group_segment_fixed_size 0
		.amdhsa_private_segment_fixed_size 0
		.amdhsa_kernarg_size 304
		.amdhsa_user_sgpr_count 6
		.amdhsa_user_sgpr_private_segment_buffer 1
		.amdhsa_user_sgpr_dispatch_ptr 0
		.amdhsa_user_sgpr_queue_ptr 0
		.amdhsa_user_sgpr_kernarg_segment_ptr 1
		.amdhsa_user_sgpr_dispatch_id 0
		.amdhsa_user_sgpr_flat_scratch_init 0
		.amdhsa_user_sgpr_private_segment_size 0
		.amdhsa_uses_dynamic_stack 0
		.amdhsa_system_sgpr_private_segment_wavefront_offset 0
		.amdhsa_system_sgpr_workgroup_id_x 1
		.amdhsa_system_sgpr_workgroup_id_y 1
		.amdhsa_system_sgpr_workgroup_id_z 0
		.amdhsa_system_sgpr_workgroup_info 0
		.amdhsa_system_vgpr_workitem_id 1
		.amdhsa_next_free_vgpr 16
		.amdhsa_next_free_sgpr 30
		.amdhsa_reserve_vcc 1
		.amdhsa_reserve_flat_scratch 0
		.amdhsa_float_round_mode_32 0
		.amdhsa_float_round_mode_16_64 0
		.amdhsa_float_denorm_mode_32 3
		.amdhsa_float_denorm_mode_16_64 3
		.amdhsa_dx10_clamp 1
		.amdhsa_ieee_mode 1
		.amdhsa_fp16_overflow 0
		.amdhsa_exception_fp_ieee_invalid_op 0
		.amdhsa_exception_fp_denorm_src 0
		.amdhsa_exception_fp_ieee_div_zero 0
		.amdhsa_exception_fp_ieee_overflow 0
		.amdhsa_exception_fp_ieee_underflow 0
		.amdhsa_exception_fp_ieee_inexact 0
		.amdhsa_exception_int_div_zero 0
	.end_amdhsa_kernel
	.text
.Lfunc_end0:
	.size	_Z6conv2dPhS_Pfiiiii, .Lfunc_end0-_Z6conv2dPhS_Pfiiiii
                                        ; -- End function
	.set _Z6conv2dPhS_Pfiiiii.num_vgpr, 16
	.set _Z6conv2dPhS_Pfiiiii.num_agpr, 0
	.set _Z6conv2dPhS_Pfiiiii.numbered_sgpr, 30
	.set _Z6conv2dPhS_Pfiiiii.num_named_barrier, 0
	.set _Z6conv2dPhS_Pfiiiii.private_seg_size, 0
	.set _Z6conv2dPhS_Pfiiiii.uses_vcc, 1
	.set _Z6conv2dPhS_Pfiiiii.uses_flat_scratch, 0
	.set _Z6conv2dPhS_Pfiiiii.has_dyn_sized_stack, 0
	.set _Z6conv2dPhS_Pfiiiii.has_recursion, 0
	.set _Z6conv2dPhS_Pfiiiii.has_indirect_call, 0
	.section	.AMDGPU.csdata,"",@progbits
; Kernel info:
; codeLenInByte = 616
; TotalNumSgprs: 34
; NumVgprs: 16
; ScratchSize: 0
; MemoryBound: 0
; FloatMode: 240
; IeeeMode: 1
; LDSByteSize: 0 bytes/workgroup (compile time only)
; SGPRBlocks: 4
; VGPRBlocks: 3
; NumSGPRsForWavesPerEU: 34
; NumVGPRsForWavesPerEU: 16
; Occupancy: 10
; WaveLimiterHint : 0
; COMPUTE_PGM_RSRC2:SCRATCH_EN: 0
; COMPUTE_PGM_RSRC2:USER_SGPR: 6
; COMPUTE_PGM_RSRC2:TRAP_HANDLER: 0
; COMPUTE_PGM_RSRC2:TGID_X_EN: 1
; COMPUTE_PGM_RSRC2:TGID_Y_EN: 1
; COMPUTE_PGM_RSRC2:TGID_Z_EN: 0
; COMPUTE_PGM_RSRC2:TIDIG_COMP_CNT: 1
	.section	.AMDGPU.gpr_maximums,"",@progbits
	.set amdgpu.max_num_vgpr, 0
	.set amdgpu.max_num_agpr, 0
	.set amdgpu.max_num_sgpr, 0
	.section	.AMDGPU.csdata,"",@progbits
	.type	__hip_cuid_b931d69e942de84f,@object ; @__hip_cuid_b931d69e942de84f
	.section	.bss,"aw",@nobits
	.globl	__hip_cuid_b931d69e942de84f
__hip_cuid_b931d69e942de84f:
	.byte	0                               ; 0x0
	.size	__hip_cuid_b931d69e942de84f, 1

	.ident	"AMD clang version 22.0.0git (https://github.com/RadeonOpenCompute/llvm-project roc-7.2.4 26084 f58b06dce1f9c15707c5f808fd002e18c2accf7e)"
	.section	".note.GNU-stack","",@progbits
	.addrsig
	.addrsig_sym __hip_cuid_b931d69e942de84f
	.amdgpu_metadata
---
amdhsa.kernels:
  - .args:
      - .address_space:  global
        .offset:         0
        .size:           8
        .value_kind:     global_buffer
      - .address_space:  global
        .offset:         8
        .size:           8
        .value_kind:     global_buffer
      - .address_space:  global
        .offset:         16
        .size:           8
        .value_kind:     global_buffer
      - .offset:         24
        .size:           4
        .value_kind:     by_value
      - .offset:         28
        .size:           4
        .value_kind:     by_value
      - .offset:         32
        .size:           4
        .value_kind:     by_value
      - .offset:         36
        .size:           4
        .value_kind:     by_value
      - .offset:         40
        .size:           4
        .value_kind:     by_value
      - .offset:         48
        .size:           4
        .value_kind:     hidden_block_count_x
      - .offset:         52
        .size:           4
        .value_kind:     hidden_block_count_y
      - .offset:         56
        .size:           4
        .value_kind:     hidden_block_count_z
      - .offset:         60
        .size:           2
        .value_kind:     hidden_group_size_x
      - .offset:         62
        .size:           2
        .value_kind:     hidden_group_size_y
      - .offset:         64
        .size:           2
        .value_kind:     hidden_group_size_z
      - .offset:         66
        .size:           2
        .value_kind:     hidden_remainder_x
      - .offset:         68
        .size:           2
        .value_kind:     hidden_remainder_y
      - .offset:         70
        .size:           2
        .value_kind:     hidden_remainder_z
      - .offset:         88
        .size:           8
        .value_kind:     hidden_global_offset_x
      - .offset:         96
        .size:           8
        .value_kind:     hidden_global_offset_y
      - .offset:         104
        .size:           8
        .value_kind:     hidden_global_offset_z
      - .offset:         112
        .size:           2
        .value_kind:     hidden_grid_dims
    .group_segment_fixed_size: 0
    .kernarg_segment_align: 8
    .kernarg_segment_size: 304
    .language:       OpenCL C
    .language_version:
      - 2
      - 0
    .max_flat_workgroup_size: 1024
    .name:           _Z6conv2dPhS_Pfiiiii
    .private_segment_fixed_size: 0
    .sgpr_count:     34
    .sgpr_spill_count: 0
    .symbol:         _Z6conv2dPhS_Pfiiiii.kd
    .uniform_work_group_size: 1
    .uses_dynamic_stack: false
    .vgpr_count:     16
    .vgpr_spill_count: 0
    .wavefront_size: 64
amdhsa.target:   amdgcn-amd-amdhsa--gfx906
amdhsa.version:
  - 1
  - 2
...

	.end_amdgpu_metadata
